;; amdgpu-corpus repo=zjin-lcf/HeCBench kind=compiled arch=gfx1250 opt=O3
	.amdgcn_target "amdgcn-amd-amdhsa--gfx1250"
	.amdhsa_code_object_version 6
	.text
	.protected	_Z6init_cPfff           ; -- Begin function _Z6init_cPfff
	.globl	_Z6init_cPfff
	.p2align	8
	.type	_Z6init_cPfff,@function
_Z6init_cPfff:                          ; @_Z6init_cPfff
; %bb.0:
	s_load_b128 s[0:3], s[0:1], 0x0
	s_bfe_u32 s4, ttmp6, 0x4000c
	s_and_b32 s5, ttmp6, 15
	s_add_co_i32 s4, s4, 1
	s_getreg_b32 s6, hwreg(HW_REG_IB_STS2, 6, 4)
	s_mul_i32 s4, ttmp9, s4
	s_delay_alu instid0(SALU_CYCLE_1) | instskip(SKIP_2) | instid1(SALU_CYCLE_1)
	s_add_co_i32 s5, s5, s4
	s_cmp_eq_u32 s6, 0
	s_cselect_b32 s4, ttmp9, s5
	s_cvt_f32_i32 s5, s4
	s_wait_kmcnt 0x0
	s_delay_alu instid0(SALU_CYCLE_2) | instskip(NEXT) | instid1(SALU_CYCLE_3)
	s_fmac_f32 s3, s2, s5
	v_dual_mov_b32 v0, s4 :: v_dual_mov_b32 v1, s3
	global_store_b32 v0, v1, s[0:1] scale_offset
	s_endpgm
	.section	.rodata,"a",@progbits
	.p2align	6, 0x0
	.amdhsa_kernel _Z6init_cPfff
		.amdhsa_group_segment_fixed_size 0
		.amdhsa_private_segment_fixed_size 0
		.amdhsa_kernarg_size 16
		.amdhsa_user_sgpr_count 2
		.amdhsa_user_sgpr_dispatch_ptr 0
		.amdhsa_user_sgpr_queue_ptr 0
		.amdhsa_user_sgpr_kernarg_segment_ptr 1
		.amdhsa_user_sgpr_dispatch_id 0
		.amdhsa_user_sgpr_kernarg_preload_length 0
		.amdhsa_user_sgpr_kernarg_preload_offset 0
		.amdhsa_user_sgpr_private_segment_size 0
		.amdhsa_wavefront_size32 1
		.amdhsa_uses_dynamic_stack 0
		.amdhsa_enable_private_segment 0
		.amdhsa_system_sgpr_workgroup_id_x 1
		.amdhsa_system_sgpr_workgroup_id_y 0
		.amdhsa_system_sgpr_workgroup_id_z 0
		.amdhsa_system_sgpr_workgroup_info 0
		.amdhsa_system_vgpr_workitem_id 0
		.amdhsa_next_free_vgpr 2
		.amdhsa_next_free_sgpr 7
		.amdhsa_named_barrier_count 0
		.amdhsa_reserve_vcc 0
		.amdhsa_float_round_mode_32 0
		.amdhsa_float_round_mode_16_64 0
		.amdhsa_float_denorm_mode_32 3
		.amdhsa_float_denorm_mode_16_64 3
		.amdhsa_fp16_overflow 0
		.amdhsa_memory_ordered 1
		.amdhsa_forward_progress 1
		.amdhsa_inst_pref_size 1
		.amdhsa_round_robin_scheduling 0
		.amdhsa_exception_fp_ieee_invalid_op 0
		.amdhsa_exception_fp_denorm_src 0
		.amdhsa_exception_fp_ieee_div_zero 0
		.amdhsa_exception_fp_ieee_overflow 0
		.amdhsa_exception_fp_ieee_underflow 0
		.amdhsa_exception_fp_ieee_inexact 0
		.amdhsa_exception_int_div_zero 0
	.end_amdhsa_kernel
	.text
.Lfunc_end0:
	.size	_Z6init_cPfff, .Lfunc_end0-_Z6init_cPfff
                                        ; -- End function
	.set _Z6init_cPfff.num_vgpr, 2
	.set _Z6init_cPfff.num_agpr, 0
	.set _Z6init_cPfff.numbered_sgpr, 7
	.set _Z6init_cPfff.num_named_barrier, 0
	.set _Z6init_cPfff.private_seg_size, 0
	.set _Z6init_cPfff.uses_vcc, 0
	.set _Z6init_cPfff.uses_flat_scratch, 0
	.set _Z6init_cPfff.has_dyn_sized_stack, 0
	.set _Z6init_cPfff.has_recursion, 0
	.set _Z6init_cPfff.has_indirect_call, 0
	.section	.AMDGPU.csdata,"",@progbits
; Kernel info:
; codeLenInByte = 88
; TotalNumSgprs: 7
; NumVgprs: 2
; ScratchSize: 0
; MemoryBound: 0
; FloatMode: 240
; IeeeMode: 1
; LDSByteSize: 0 bytes/workgroup (compile time only)
; SGPRBlocks: 0
; VGPRBlocks: 0
; NumSGPRsForWavesPerEU: 7
; NumVGPRsForWavesPerEU: 2
; NamedBarCnt: 0
; Occupancy: 16
; WaveLimiterHint : 0
; COMPUTE_PGM_RSRC2:SCRATCH_EN: 0
; COMPUTE_PGM_RSRC2:USER_SGPR: 2
; COMPUTE_PGM_RSRC2:TRAP_HANDLER: 0
; COMPUTE_PGM_RSRC2:TGID_X_EN: 1
; COMPUTE_PGM_RSRC2:TGID_Y_EN: 0
; COMPUTE_PGM_RSRC2:TGID_Z_EN: 0
; COMPUTE_PGM_RSRC2:TIDIG_COMP_CNT: 0
	.text
	.protected	_Z9init_halfPKfS0_S0_S0_S0_Pf ; -- Begin function _Z9init_halfPKfS0_S0_S0_S0_Pf
	.globl	_Z9init_halfPKfS0_S0_S0_S0_Pf
	.p2align	8
	.type	_Z9init_halfPKfS0_S0_S0_S0_Pf,@function
_Z9init_halfPKfS0_S0_S0_S0_Pf:          ; @_Z9init_halfPKfS0_S0_S0_S0_Pf
; %bb.0:
	s_load_b256 s[4:11], s[0:1], 0x0
	s_bfe_u32 s2, ttmp6, 0x4000c
	s_and_b32 s3, ttmp6, 15
	s_add_co_i32 s2, s2, 1
	s_getreg_b32 s12, hwreg(HW_REG_IB_STS2, 6, 4)
	s_mul_i32 s2, ttmp9, s2
	s_delay_alu instid0(SALU_CYCLE_1) | instskip(SKIP_2) | instid1(SALU_CYCLE_1)
	s_add_co_i32 s3, s3, s2
	s_cmp_eq_u32 s12, 0
	s_cselect_b32 s2, ttmp9, s3
	s_ashr_i32 s3, s2, 31
	s_delay_alu instid0(SALU_CYCLE_1)
	s_lshl_b64 s[12:13], s[2:3], 2
	s_wait_kmcnt 0x0
	s_add_nc_u64 s[2:3], s[4:5], s[12:13]
	s_load_b32 s4, s[2:3], 0x0
	s_wait_xcnt 0x0
	s_mov_b64 s[2:3], 0x3d3c25c268497682
	s_wait_kmcnt 0x0
	v_cvt_f64_f32_e64 v[0:1], |s4|
	s_delay_alu instid0(VALU_DEP_1)
	v_cmp_gt_f64_e32 vcc_lo, s[2:3], v[0:1]
	s_load_b128 s[0:3], s[0:1], 0x20
	v_mov_b32_e32 v0, 1.0
	s_cbranch_vccnz .LBB1_4
; %bb.1:
	s_cmp_nlt_f32 s4, 0
	s_cbranch_scc1 .LBB1_3
; %bb.2:
	v_div_scale_f32 v0, null, s4, s4, 1.0
	s_delay_alu instid0(VALU_DEP_1)
	v_rcp_f32_e32 v1, v0
	v_nop
	v_xor_b32_e32 v0, 0x80000000, v0
	s_delay_alu instid0(TRANS32_DEP_1) | instid1(VALU_DEP_1)
	v_fma_f32 v2, v0, v1, 1.0
	s_delay_alu instid0(VALU_DEP_1) | instskip(SKIP_1) | instid1(VALU_DEP_1)
	v_fmac_f32_e32 v1, v2, v1
	v_div_scale_f32 v2, vcc_lo, 1.0, s4, 1.0
	v_mul_f32_e32 v3, v2, v1
	s_delay_alu instid0(VALU_DEP_1) | instskip(NEXT) | instid1(VALU_DEP_1)
	v_fma_f32 v4, v0, v3, v2
	v_fmac_f32_e32 v3, v4, v1
	s_delay_alu instid0(VALU_DEP_1) | instskip(NEXT) | instid1(VALU_DEP_1)
	v_fmac_f32_e32 v2, v0, v3
	v_div_fmas_f32 v0, v2, v1, v3
	s_delay_alu instid0(VALU_DEP_1)
	v_div_fixup_f32 v0, v0, s4, 1.0
	s_branch .LBB1_4
.LBB1_3:
	v_mov_b32_e32 v0, s4
.LBB1_4:
	s_add_nc_u64 s[4:5], s[6:7], s[12:13]
	s_add_nc_u64 s[6:7], s[8:9], s[12:13]
	s_load_b32 s8, s[4:5], 0x0
	s_wait_xcnt 0x0
	s_add_nc_u64 s[4:5], s[10:11], s[12:13]
	s_wait_kmcnt 0x0
	s_add_nc_u64 s[0:1], s[0:1], s[12:13]
	s_load_b32 s6, s[6:7], 0x0
	s_wait_xcnt 0x0
	s_load_b32 s7, s[4:5], 0x0
	s_load_b32 s9, s[0:1], 0x0
	s_wait_xcnt 0x0
	s_add_nc_u64 s[0:1], s[2:3], s[12:13]
	s_wait_kmcnt 0x0
	v_dual_mov_b32 v2, s8 :: v_dual_mov_b32 v3, s6
	v_dual_mov_b32 v4, s7 :: v_dual_mov_b32 v5, s9
	s_delay_alu instid0(VALU_DEP_1) | instskip(NEXT) | instid1(VALU_DEP_1)
	v_pk_add_f32 v[2:3], v[2:3], v[4:5] neg_lo:[0,1] neg_hi:[0,1]
	v_pk_mul_f32 v[0:1], v[0:1], v[2:3] op_sel_hi:[0,1]
	s_delay_alu instid0(VALU_DEP_1) | instskip(NEXT) | instid1(VALU_DEP_1)
	v_pk_mul_f32 v[0:1], v[0:1], v[0:1]
	v_add_f32_e32 v0, v0, v1
	s_delay_alu instid0(VALU_DEP_1) | instskip(NEXT) | instid1(VALU_DEP_1)
	v_mul_f32_e32 v0, 0x3e800000, v0
	v_div_scale_f32 v1, null, 0x49742400, 0x49742400, v0
	v_div_scale_f32 v4, vcc_lo, v0, 0x49742400, v0
	s_delay_alu instid0(VALU_DEP_2)
	v_rcp_f32_e32 v2, v1
	v_nop
	v_xor_b32_e32 v1, 0x80000000, v1
	s_delay_alu instid0(TRANS32_DEP_1) | instid1(VALU_DEP_1)
	v_fma_f32 v3, v1, v2, 1.0
	s_delay_alu instid0(VALU_DEP_1) | instskip(NEXT) | instid1(VALU_DEP_1)
	v_fmac_f32_e32 v2, v3, v2
	v_mul_f32_e32 v3, v4, v2
	s_delay_alu instid0(VALU_DEP_1) | instskip(NEXT) | instid1(VALU_DEP_1)
	v_fma_f32 v5, v1, v3, v4
	v_fmac_f32_e32 v3, v5, v2
	s_delay_alu instid0(VALU_DEP_1) | instskip(NEXT) | instid1(VALU_DEP_1)
	v_fmac_f32_e32 v4, v1, v3
	v_div_fmas_f32 v1, v4, v2, v3
	s_delay_alu instid0(VALU_DEP_1)
	v_div_fixup_f32 v0, v1, 0x49742400, v0
	v_mov_b32_e32 v1, 0
	global_store_b32 v1, v0, s[0:1]
	s_endpgm
	.section	.rodata,"a",@progbits
	.p2align	6, 0x0
	.amdhsa_kernel _Z9init_halfPKfS0_S0_S0_S0_Pf
		.amdhsa_group_segment_fixed_size 0
		.amdhsa_private_segment_fixed_size 0
		.amdhsa_kernarg_size 48
		.amdhsa_user_sgpr_count 2
		.amdhsa_user_sgpr_dispatch_ptr 0
		.amdhsa_user_sgpr_queue_ptr 0
		.amdhsa_user_sgpr_kernarg_segment_ptr 1
		.amdhsa_user_sgpr_dispatch_id 0
		.amdhsa_user_sgpr_kernarg_preload_length 0
		.amdhsa_user_sgpr_kernarg_preload_offset 0
		.amdhsa_user_sgpr_private_segment_size 0
		.amdhsa_wavefront_size32 1
		.amdhsa_uses_dynamic_stack 0
		.amdhsa_enable_private_segment 0
		.amdhsa_system_sgpr_workgroup_id_x 1
		.amdhsa_system_sgpr_workgroup_id_y 0
		.amdhsa_system_sgpr_workgroup_id_z 0
		.amdhsa_system_sgpr_workgroup_info 0
		.amdhsa_system_vgpr_workitem_id 0
		.amdhsa_next_free_vgpr 6
		.amdhsa_next_free_sgpr 14
		.amdhsa_named_barrier_count 0
		.amdhsa_reserve_vcc 1
		.amdhsa_float_round_mode_32 0
		.amdhsa_float_round_mode_16_64 0
		.amdhsa_float_denorm_mode_32 3
		.amdhsa_float_denorm_mode_16_64 3
		.amdhsa_fp16_overflow 0
		.amdhsa_memory_ordered 1
		.amdhsa_forward_progress 1
		.amdhsa_inst_pref_size 5
		.amdhsa_round_robin_scheduling 0
		.amdhsa_exception_fp_ieee_invalid_op 0
		.amdhsa_exception_fp_denorm_src 0
		.amdhsa_exception_fp_ieee_div_zero 0
		.amdhsa_exception_fp_ieee_overflow 0
		.amdhsa_exception_fp_ieee_underflow 0
		.amdhsa_exception_fp_ieee_inexact 0
		.amdhsa_exception_int_div_zero 0
	.end_amdhsa_kernel
	.text
.Lfunc_end1:
	.size	_Z9init_halfPKfS0_S0_S0_S0_Pf, .Lfunc_end1-_Z9init_halfPKfS0_S0_S0_S0_Pf
                                        ; -- End function
	.set _Z9init_halfPKfS0_S0_S0_S0_Pf.num_vgpr, 6
	.set _Z9init_halfPKfS0_S0_S0_S0_Pf.num_agpr, 0
	.set _Z9init_halfPKfS0_S0_S0_S0_Pf.numbered_sgpr, 14
	.set _Z9init_halfPKfS0_S0_S0_S0_Pf.num_named_barrier, 0
	.set _Z9init_halfPKfS0_S0_S0_S0_Pf.private_seg_size, 0
	.set _Z9init_halfPKfS0_S0_S0_S0_Pf.uses_vcc, 1
	.set _Z9init_halfPKfS0_S0_S0_S0_Pf.uses_flat_scratch, 0
	.set _Z9init_halfPKfS0_S0_S0_S0_Pf.has_dyn_sized_stack, 0
	.set _Z9init_halfPKfS0_S0_S0_S0_Pf.has_recursion, 0
	.set _Z9init_halfPKfS0_S0_S0_S0_Pf.has_indirect_call, 0
	.section	.AMDGPU.csdata,"",@progbits
; Kernel info:
; codeLenInByte = 520
; TotalNumSgprs: 16
; NumVgprs: 6
; ScratchSize: 0
; MemoryBound: 0
; FloatMode: 240
; IeeeMode: 1
; LDSByteSize: 0 bytes/workgroup (compile time only)
; SGPRBlocks: 0
; VGPRBlocks: 0
; NumSGPRsForWavesPerEU: 16
; NumVGPRsForWavesPerEU: 6
; NamedBarCnt: 0
; Occupancy: 16
; WaveLimiterHint : 0
; COMPUTE_PGM_RSRC2:SCRATCH_EN: 0
; COMPUTE_PGM_RSRC2:USER_SGPR: 2
; COMPUTE_PGM_RSRC2:TRAP_HANDLER: 0
; COMPUTE_PGM_RSRC2:TGID_X_EN: 1
; COMPUTE_PGM_RSRC2:TGID_Y_EN: 0
; COMPUTE_PGM_RSRC2:TGID_Z_EN: 0
; COMPUTE_PGM_RSRC2:TIDIG_COMP_CNT: 0
	.text
	.protected	_Z18compute_semblancesPKfS0_S0_PfS1_iiffiiii ; -- Begin function _Z18compute_semblancesPKfS0_S0_PfS1_iiffiiii
	.globl	_Z18compute_semblancesPKfS0_S0_PfS1_iiffiiii
	.p2align	8
	.type	_Z18compute_semblancesPKfS0_S0_PfS1_iiffiiii,@function
_Z18compute_semblancesPKfS0_S0_PfS1_iiffiiii: ; @_Z18compute_semblancesPKfS0_S0_PfS1_iiffiiii
; %bb.0:
	s_load_b256 s[20:27], s[0:1], 0x28
	s_bfe_u32 s2, ttmp6, 0x4000c
	s_and_b32 s3, ttmp6, 15
	s_add_co_i32 s2, s2, 1
	s_getreg_b32 s4, hwreg(HW_REG_IB_STS2, 6, 4)
	s_mul_i32 s2, ttmp9, s2
	s_delay_alu instid0(SALU_CYCLE_1) | instskip(SKIP_3) | instid1(SALU_CYCLE_1)
	s_add_co_i32 s3, s3, s2
	s_cmp_eq_u32 s4, 0
	s_mov_b32 s4, 0
	s_cselect_b32 s2, ttmp9, s3
	v_lshl_add_u32 v16, s2, 7, v0
	s_wait_kmcnt 0x0
	s_mul_i32 s2, s27, s26
	s_delay_alu instid0(VALU_DEP_1) | instid1(SALU_CYCLE_1)
	v_cmp_gt_i32_e32 vcc_lo, s2, v16
	s_and_saveexec_b32 s2, vcc_lo
	s_cbranch_execz .LBB2_24
; %bb.1:
	s_abs_i32 s2, s26
	s_load_b128 s[28:31], s[0:1], 0x8
	s_cvt_f32_u32 s3, s2
	s_sub_co_i32 s5, 0, s2
	s_mov_b32 s6, s4
	s_mov_b32 s7, s4
	v_rcp_iflag_f32_e32 v0, s3
	s_mov_b32 s8, s4
	s_mov_b32 s9, s4
	;; [unrolled: 1-line block ×6, first 2 shown]
	v_nop
	v_readfirstlane_b32 s3, v0
	v_sub_nc_u32_e32 v0, 0, v16
	s_mov_b32 s14, s4
	s_mov_b32 s15, s4
	;; [unrolled: 1-line block ×3, first 2 shown]
	s_mul_f32 s3, s3, 0x4f7ffffe
	v_max_i32_e32 v0, v16, v0
	s_mov_b32 s17, s4
	s_mov_b32 s18, s4
	s_cvt_u32_f32 s3, s3
	s_mov_b32 s19, s4
	s_delay_alu instid0(SALU_CYCLE_2) | instskip(NEXT) | instid1(SALU_CYCLE_1)
	s_mul_i32 s5, s5, s3
	s_mul_hi_u32 s5, s3, s5
	s_delay_alu instid0(SALU_CYCLE_1) | instskip(SKIP_3) | instid1(VALU_DEP_1)
	s_add_co_i32 s3, s3, s5
	s_mov_b32 s5, s4
	v_mul_hi_u32 v1, v0, s3
	s_cmp_gt_i32 s25, 0
	v_mul_lo_u32 v2, v1, s2
	s_delay_alu instid0(VALU_DEP_1) | instskip(NEXT) | instid1(VALU_DEP_1)
	v_dual_sub_nc_u32 v0, v0, v2 :: v_dual_add_nc_u32 v2, 1, v1
	v_cmp_le_u32_e32 vcc_lo, s2, v0
	s_delay_alu instid0(VALU_DEP_2) | instskip(SKIP_1) | instid1(VALU_DEP_1)
	v_dual_cndmask_b32 v1, v1, v2, vcc_lo :: v_dual_bitop2_b32 v2, s26, v16 bitop3:0x14
	v_subrev_nc_u32_e32 v3, s2, v0
	v_dual_cndmask_b32 v0, v0, v3 :: v_dual_add_nc_u32 v3, 1, v1
	s_delay_alu instid0(VALU_DEP_1) | instskip(NEXT) | instid1(VALU_DEP_4)
	v_cmp_le_u32_e32 vcc_lo, s2, v0
	v_ashrrev_i32_e32 v2, 31, v2
	s_load_b64 s[2:3], s[0:1], 0x18
	s_delay_alu instid0(VALU_DEP_3) | instskip(NEXT) | instid1(VALU_DEP_1)
	v_cndmask_b32_e32 v0, v1, v3, vcc_lo
	v_xor_b32_e32 v0, v0, v2
	s_delay_alu instid0(VALU_DEP_1) | instskip(NEXT) | instid1(VALU_DEP_1)
	v_sub_nc_u32_e32 v18, v0, v2
	v_mul_lo_u32 v0, v18, s26
	s_delay_alu instid0(VALU_DEP_1)
	v_sub_nc_u32_e32 v0, v16, v0
	s_wait_kmcnt 0x0
	global_load_b32 v17, v0, s[28:29] scale_offset
	s_wait_xcnt 0x0
	v_mov_b64_e32 v[0:1], s[4:5]
	v_mov_b64_e32 v[2:3], s[6:7]
	;; [unrolled: 1-line block ×8, first 2 shown]
	s_cselect_b32 s12, -1, 0
	s_cmp_lt_i32 s25, 1
	s_cbranch_scc1 .LBB2_4
; %bb.2:
	v_dual_mov_b32 v15, 0 :: v_dual_mov_b32 v14, 0
	v_dual_mov_b32 v13, 0 :: v_dual_mov_b32 v12, 0
	v_dual_mov_b32 v11, 0 :: v_dual_mov_b32 v10, 0
	v_dual_mov_b32 v9, 0 :: v_dual_mov_b32 v8, 0
	v_dual_mov_b32 v7, 0 :: v_dual_mov_b32 v6, 0
	v_dual_mov_b32 v5, 0 :: v_dual_mov_b32 v4, 0
	v_dual_mov_b32 v3, 0 :: v_dual_mov_b32 v2, 0
	v_dual_mov_b32 v1, 0 :: v_dual_mov_b32 v0, 0
	s_mov_b64 s[4:5], 0
.LBB2_3:                                ; =>This Inner Loop Header: Depth=1
	s_delay_alu instid0(SALU_CYCLE_1) | instskip(SKIP_1) | instid1(VALU_DEP_1)
	s_mov_b32 m0, s4
	s_add_nc_u64 s[4:5], s[4:5], 1
	v_movreld_b32_e32 v0, 0
	s_cmp_eq_u32 s25, s4
	s_cbranch_scc0 .LBB2_3
.LBB2_4:
	s_clause 0x1
	s_load_b64 s[6:7], s[0:1], 0x0
	s_load_b64 s[4:5], s[0:1], 0x20
	s_cmp_ge_i32 s20, s21
	s_cbranch_scc1 .LBB2_14
; %bb.5:
	v_cvt_f32_i32_e32 v18, v18
	s_add_co_i32 s13, s24, 1
	s_add_nc_u64 s[8:9], s[30:31], 4
	s_sub_co_i32 s14, 0, s24
	s_mov_b32 s10, s20
	v_dual_mul_f32 v20, s23, v18 :: v_dual_mov_b32 v25, 0
	v_mov_b64_e32 v[18:19], 0
	s_delay_alu instid0(VALU_DEP_2)
	v_dual_mov_b32 v24, 0 :: v_dual_mul_f32 v26, v20, v20
	s_branch .LBB2_8
.LBB2_6:                                ;   in Loop: Header=BB2_8 Depth=1
	v_add_f32_e32 v24, 1.0, v24
.LBB2_7:                                ;   in Loop: Header=BB2_8 Depth=1
	s_or_b32 exec_lo, exec_lo, s11
	s_add_co_i32 s10, s10, 1
	s_add_co_i32 s14, s14, s27
	s_cmp_ge_i32 s10, s21
	s_cbranch_scc1 .LBB2_16
.LBB2_8:                                ; =>This Loop Header: Depth=1
                                        ;     Child Loop BB2_13 Depth 2
	s_ashr_i32 s11, s10, 31
	s_wait_xcnt 0x0
	s_lshl_b64 s[0:1], s[10:11], 2
	s_wait_kmcnt 0x0
	s_add_nc_u64 s[0:1], s[6:7], s[0:1]
	s_load_b32 s0, s[0:1], 0x0
	s_wait_loadcnt 0x0
	s_wait_kmcnt 0x0
	v_fma_f32 v20, s0, v17, v26
	s_delay_alu instid0(VALU_DEP_1) | instskip(SKIP_1) | instid1(VALU_DEP_2)
	v_mul_f32_e32 v21, 0x4f800000, v20
	v_cmp_gt_f32_e32 vcc_lo, 0xf800000, v20
	v_cndmask_b32_e32 v20, v20, v21, vcc_lo
	s_delay_alu instid0(VALU_DEP_1) | instskip(SKIP_1) | instid1(TRANS32_DEP_1)
	v_sqrt_f32_e32 v21, v20
	v_nop
	v_dual_add_nc_u32 v22, -1, v21 :: v_dual_add_nc_u32 v23, 1, v21
	s_delay_alu instid0(VALU_DEP_1) | instskip(NEXT) | instid1(VALU_DEP_1)
	v_dual_fma_f32 v27, -v22, v21, v20 :: v_dual_fma_f32 v28, -v23, v21, v20
	v_cmp_ge_f32_e64 s0, 0, v27
	s_delay_alu instid0(VALU_DEP_1) | instskip(NEXT) | instid1(VALU_DEP_3)
	v_cndmask_b32_e64 v21, v21, v22, s0
	v_cmp_lt_f32_e64 s0, 0, v28
	s_delay_alu instid0(VALU_DEP_1) | instskip(NEXT) | instid1(VALU_DEP_1)
	v_cndmask_b32_e64 v21, v21, v23, s0
	v_mul_f32_e32 v22, 0x37800000, v21
	s_delay_alu instid0(VALU_DEP_1) | instskip(SKIP_1) | instid1(VALU_DEP_2)
	v_cndmask_b32_e32 v21, v21, v22, vcc_lo
	v_cmp_class_f32_e64 vcc_lo, v20, 0x260
	v_cndmask_b32_e32 v20, v21, v20, vcc_lo
	s_delay_alu instid0(VALU_DEP_1) | instskip(NEXT) | instid1(VALU_DEP_1)
	v_mul_f32_e32 v21, s22, v20
	v_cvt_i32_f32_e32 v22, v21
	s_delay_alu instid0(VALU_DEP_1) | instskip(SKIP_1) | instid1(VALU_DEP_2)
	v_subrev_nc_u32_e32 v20, s24, v22
	v_add_nc_u32_e32 v23, s13, v22
	v_cmp_gt_i32_e32 vcc_lo, 0, v20
	s_delay_alu instid0(VALU_DEP_2) | instskip(SKIP_1) | instid1(SALU_CYCLE_1)
	v_cmp_le_i32_e64 s0, s27, v23
	s_or_b32 s0, vcc_lo, s0
	s_and_saveexec_b32 s1, s0
	s_delay_alu instid0(SALU_CYCLE_1)
	s_xor_b32 s0, exec_lo, s1
; %bb.9:                                ;   in Loop: Header=BB2_8 Depth=1
	v_add_nc_u32_e32 v25, 1, v25
                                        ; implicit-def: $vgpr22
                                        ; implicit-def: $vgpr21
                                        ; implicit-def: $vgpr20
; %bb.10:                               ;   in Loop: Header=BB2_8 Depth=1
	s_and_not1_saveexec_b32 s11, s0
	s_cbranch_execz .LBB2_7
; %bb.11:                               ;   in Loop: Header=BB2_8 Depth=1
	s_and_not1_b32 vcc_lo, exec_lo, s12
	s_cbranch_vccnz .LBB2_6
; %bb.12:                               ;   in Loop: Header=BB2_8 Depth=1
	s_sub_co_i32 s0, s10, s20
	v_add_nc_u32_e32 v28, s14, v22
	v_mad_u32 v20, s0, s27, v20
	v_cvt_f32_i32_e32 v22, v22
	s_mov_b64 s[0:1], 0
	s_delay_alu instid0(VALU_DEP_1)
	v_dual_sub_f32 v27, v21, v22 :: v_dual_ashrrev_i32 v29, 31, v28
	global_load_b32 v20, v20, s[30:31] scale_offset
	v_lshl_add_u64 v[22:23], v[28:29], 2, s[8:9]
.LBB2_13:                               ;   Parent Loop BB2_8 Depth=1
                                        ; =>  This Inner Loop Header: Depth=2
	global_load_b32 v28, v[22:23], off
	s_mov_b32 m0, s0
	s_wait_xcnt 0x0
	v_add_nc_u64_e32 v[22:23], 4, v[22:23]
	v_movrels_b32_e32 v29, v0
	s_add_nc_u64 s[0:1], s[0:1], 1
	s_delay_alu instid0(SALU_CYCLE_1) | instskip(SKIP_2) | instid1(VALU_DEP_1)
	s_cmp_eq_u32 s25, s0
	s_wait_loadcnt 0x0
	v_sub_f32_e32 v21, v28, v20
	v_fmac_f32_e32 v20, v27, v21
	s_delay_alu instid0(VALU_DEP_1) | instskip(NEXT) | instid1(VALU_DEP_1)
	v_dual_mul_f32 v21, v20, v20 :: v_dual_add_f32 v29, v29, v20
	v_pk_add_f32 v[18:19], v[18:19], v[20:21]
	v_mov_b32_e32 v20, v28
	s_delay_alu instid0(VALU_DEP_3)
	v_movreld_b32_e32 v0, v29
	s_cbranch_scc0 .LBB2_13
	s_branch .LBB2_6
.LBB2_14:
	v_mov_b64_e32 v[18:19], 0
	v_mov_b32_e32 v24, 0
	s_wait_kmcnt 0x0
	s_mov_b32 s6, -1
	v_mov_b32_e32 v20, 0
	s_and_not1_b32 vcc_lo, exec_lo, s12
	s_cbranch_vccz .LBB2_17
.LBB2_15:
	s_mov_b32 s6, 0
	s_branch .LBB2_19
.LBB2_16:
	v_cmp_gt_i32_e64 s6, 2, v25
	v_mov_b32_e32 v20, 0
	s_and_not1_b32 vcc_lo, exec_lo, s12
	s_cbranch_vccnz .LBB2_15
.LBB2_17:
	s_mov_b64 s[0:1], 0
.LBB2_18:                               ; =>This Inner Loop Header: Depth=1
	s_delay_alu instid0(SALU_CYCLE_1) | instskip(SKIP_4) | instid1(VALU_DEP_1)
	s_mov_b32 m0, s0
	s_add_nc_u64 s[0:1], s[0:1], 1
	s_wait_loadcnt 0x0
	v_movrels_b32_e32 v17, v0
	s_cmp_eq_u32 s25, s0
	v_fmac_f32_e32 v20, v17, v17
	s_cbranch_scc0 .LBB2_18
.LBB2_19:
	v_cvt_f64_f32_e32 v[0:1], v19
	v_cvt_f64_f32_e32 v[2:3], v24
	s_mov_b64 s[0:1], 0x3d3c25c268497682
	s_wait_loadcnt 0x0
	v_ashrrev_i32_e32 v17, 31, v16
	s_delay_alu instid0(VALU_DEP_3) | instskip(NEXT) | instid1(VALU_DEP_3)
	v_cmp_lt_f64_e32 vcc_lo, s[0:1], v[0:1]
	v_cmp_lt_f64_e64 s0, s[0:1], v[2:3]
	s_and_b32 s0, vcc_lo, s0
	s_delay_alu instid0(SALU_CYCLE_1) | instskip(NEXT) | instid1(SALU_CYCLE_1)
	s_and_b32 s0, s0, s6
	s_xor_b32 s0, s0, -1
	s_delay_alu instid0(SALU_CYCLE_1) | instskip(NEXT) | instid1(SALU_CYCLE_1)
	s_and_saveexec_b32 s1, s0
	s_xor_b32 s0, exec_lo, s1
	s_cbranch_execz .LBB2_21
; %bb.20:
	v_mov_b32_e32 v0, -1.0
                                        ; implicit-def: $vgpr24
                                        ; implicit-def: $vgpr18_vgpr19
                                        ; implicit-def: $vgpr20
	global_store_b32 v16, v0, s[2:3] scale_offset
.LBB2_21:
	s_wait_xcnt 0x0
	s_or_saveexec_b32 s1, s0
	v_mov_b32_e32 v0, -1.0
	s_xor_b32 exec_lo, exec_lo, s1
	s_cbranch_execz .LBB2_23
; %bb.22:
	s_cvt_f32_u32 s0, s25
	s_delay_alu instid0(SALU_CYCLE_3) | instskip(NEXT) | instid1(VALU_DEP_1)
	v_dual_mul_f32 v0, v24, v19 :: v_dual_mul_f32 v1, s0, v24
	v_div_scale_f32 v2, null, v0, v0, v20
	v_div_scale_f32 v8, vcc_lo, v20, v0, v20
	s_delay_alu instid0(VALU_DEP_3) | instskip(NEXT) | instid1(VALU_DEP_3)
	v_div_scale_f32 v3, null, v1, v1, v18
	v_rcp_f32_e32 v4, v2
	s_delay_alu instid0(VALU_DEP_1) | instskip(NEXT) | instid1(TRANS32_DEP_2)
	v_rcp_f32_e32 v5, v3
	v_fma_f32 v6, -v2, v4, 1.0
	s_delay_alu instid0(TRANS32_DEP_1) | instskip(NEXT) | instid1(VALU_DEP_2)
	v_fma_f32 v7, -v3, v5, 1.0
	v_fmac_f32_e32 v4, v6, v4
	v_div_scale_f32 v6, s0, v18, v1, v18
	s_delay_alu instid0(VALU_DEP_2) | instskip(NEXT) | instid1(VALU_DEP_1)
	v_dual_fmac_f32 v5, v7, v5 :: v_dual_mul_f32 v7, v8, v4
	v_mul_f32_e32 v9, v6, v5
	s_delay_alu instid0(VALU_DEP_1) | instskip(NEXT) | instid1(VALU_DEP_1)
	v_dual_fma_f32 v10, -v2, v7, v8 :: v_dual_fma_f32 v11, -v3, v9, v6
	v_dual_fmac_f32 v7, v10, v4 :: v_dual_fmac_f32 v9, v11, v5
	s_delay_alu instid0(VALU_DEP_1) | instskip(NEXT) | instid1(VALU_DEP_1)
	v_dual_fma_f32 v2, -v2, v7, v8 :: v_dual_fma_f32 v3, -v3, v9, v6
	v_div_fmas_f32 v2, v2, v4, v7
	s_mov_b32 vcc_lo, s0
	s_delay_alu instid0(VALU_DEP_2) | instskip(NEXT) | instid1(VALU_DEP_2)
	v_div_fmas_f32 v3, v3, v5, v9
	v_div_fixup_f32 v2, v2, v0, v20
	s_delay_alu instid0(VALU_DEP_2)
	v_div_fixup_f32 v0, v3, v1, v18
	global_store_b32 v16, v2, s[2:3] scale_offset
.LBB2_23:
	s_wait_xcnt 0x0
	s_or_b32 exec_lo, exec_lo, s1
	v_lshl_add_u64 v[2:3], v[16:17], 2, s[4:5]
	global_store_b32 v[2:3], v0, off
.LBB2_24:
	s_endpgm
	.section	.rodata,"a",@progbits
	.p2align	6, 0x0
	.amdhsa_kernel _Z18compute_semblancesPKfS0_S0_PfS1_iiffiiii
		.amdhsa_group_segment_fixed_size 0
		.amdhsa_private_segment_fixed_size 0
		.amdhsa_kernarg_size 72
		.amdhsa_user_sgpr_count 2
		.amdhsa_user_sgpr_dispatch_ptr 0
		.amdhsa_user_sgpr_queue_ptr 0
		.amdhsa_user_sgpr_kernarg_segment_ptr 1
		.amdhsa_user_sgpr_dispatch_id 0
		.amdhsa_user_sgpr_kernarg_preload_length 0
		.amdhsa_user_sgpr_kernarg_preload_offset 0
		.amdhsa_user_sgpr_private_segment_size 0
		.amdhsa_wavefront_size32 1
		.amdhsa_uses_dynamic_stack 0
		.amdhsa_enable_private_segment 0
		.amdhsa_system_sgpr_workgroup_id_x 1
		.amdhsa_system_sgpr_workgroup_id_y 0
		.amdhsa_system_sgpr_workgroup_id_z 0
		.amdhsa_system_sgpr_workgroup_info 0
		.amdhsa_system_vgpr_workitem_id 0
		.amdhsa_next_free_vgpr 30
		.amdhsa_next_free_sgpr 32
		.amdhsa_named_barrier_count 0
		.amdhsa_reserve_vcc 1
		.amdhsa_float_round_mode_32 0
		.amdhsa_float_round_mode_16_64 0
		.amdhsa_float_denorm_mode_32 3
		.amdhsa_float_denorm_mode_16_64 3
		.amdhsa_fp16_overflow 0
		.amdhsa_memory_ordered 1
		.amdhsa_forward_progress 1
		.amdhsa_inst_pref_size 12
		.amdhsa_round_robin_scheduling 0
		.amdhsa_exception_fp_ieee_invalid_op 0
		.amdhsa_exception_fp_denorm_src 0
		.amdhsa_exception_fp_ieee_div_zero 0
		.amdhsa_exception_fp_ieee_overflow 0
		.amdhsa_exception_fp_ieee_underflow 0
		.amdhsa_exception_fp_ieee_inexact 0
		.amdhsa_exception_int_div_zero 0
	.end_amdhsa_kernel
	.text
.Lfunc_end2:
	.size	_Z18compute_semblancesPKfS0_S0_PfS1_iiffiiii, .Lfunc_end2-_Z18compute_semblancesPKfS0_S0_PfS1_iiffiiii
                                        ; -- End function
	.set _Z18compute_semblancesPKfS0_S0_PfS1_iiffiiii.num_vgpr, 30
	.set _Z18compute_semblancesPKfS0_S0_PfS1_iiffiiii.num_agpr, 0
	.set _Z18compute_semblancesPKfS0_S0_PfS1_iiffiiii.numbered_sgpr, 32
	.set _Z18compute_semblancesPKfS0_S0_PfS1_iiffiiii.num_named_barrier, 0
	.set _Z18compute_semblancesPKfS0_S0_PfS1_iiffiiii.private_seg_size, 0
	.set _Z18compute_semblancesPKfS0_S0_PfS1_iiffiiii.uses_vcc, 1
	.set _Z18compute_semblancesPKfS0_S0_PfS1_iiffiiii.uses_flat_scratch, 0
	.set _Z18compute_semblancesPKfS0_S0_PfS1_iiffiiii.has_dyn_sized_stack, 0
	.set _Z18compute_semblancesPKfS0_S0_PfS1_iiffiiii.has_recursion, 0
	.set _Z18compute_semblancesPKfS0_S0_PfS1_iiffiiii.has_indirect_call, 0
	.section	.AMDGPU.csdata,"",@progbits
; Kernel info:
; codeLenInByte = 1456
; TotalNumSgprs: 34
; NumVgprs: 30
; ScratchSize: 0
; MemoryBound: 0
; FloatMode: 240
; IeeeMode: 1
; LDSByteSize: 0 bytes/workgroup (compile time only)
; SGPRBlocks: 0
; VGPRBlocks: 1
; NumSGPRsForWavesPerEU: 34
; NumVGPRsForWavesPerEU: 30
; NamedBarCnt: 0
; Occupancy: 16
; WaveLimiterHint : 0
; COMPUTE_PGM_RSRC2:SCRATCH_EN: 0
; COMPUTE_PGM_RSRC2:USER_SGPR: 2
; COMPUTE_PGM_RSRC2:TRAP_HANDLER: 0
; COMPUTE_PGM_RSRC2:TGID_X_EN: 1
; COMPUTE_PGM_RSRC2:TGID_Y_EN: 0
; COMPUTE_PGM_RSRC2:TGID_Z_EN: 0
; COMPUTE_PGM_RSRC2:TIDIG_COMP_CNT: 0
	.text
	.protected	_Z16redux_semblancesPKfS0_PiPfS2_iii ; -- Begin function _Z16redux_semblancesPKfS0_PiPfS2_iii
	.globl	_Z16redux_semblancesPKfS0_PiPfS2_iii
	.p2align	8
	.type	_Z16redux_semblancesPKfS0_PiPfS2_iii,@function
_Z16redux_semblancesPKfS0_PiPfS2_iii:   ; @_Z16redux_semblancesPKfS0_PiPfS2_iii
; %bb.0:
	s_load_b96 s[8:10], s[0:1], 0x28
	s_bfe_u32 s2, ttmp6, 0x4000c
	s_and_b32 s3, ttmp6, 15
	s_add_co_i32 s2, s2, 1
	s_getreg_b32 s4, hwreg(HW_REG_IB_STS2, 6, 4)
	s_mul_i32 s2, ttmp9, s2
	s_delay_alu instid0(SALU_CYCLE_1) | instskip(SKIP_2) | instid1(SALU_CYCLE_1)
	s_add_co_i32 s3, s3, s2
	s_cmp_eq_u32 s4, 0
	s_cselect_b32 s2, ttmp9, s3
	v_lshl_add_u32 v4, s2, 7, v0
	s_mov_b32 s2, exec_lo
	s_wait_kmcnt 0x0
	s_delay_alu instid0(VALU_DEP_1)
	v_cmpx_gt_i32_e64 s10, v4
	s_cbranch_execz .LBB3_9
; %bb.1:
	s_clause 0x1
	s_load_b128 s[4:7], s[0:1], 0x8
	s_load_b64 s[12:13], s[0:1], 0x18
	s_cmp_lt_i32 s8, 1
	s_cbranch_scc1 .LBB3_5
; %bb.2:
	s_load_b64 s[2:3], s[0:1], 0x0
	v_mul_lo_u32 v0, s8, v4
	v_dual_mov_b32 v5, -1 :: v_dual_mov_b32 v6, 0
	s_delay_alu instid0(VALU_DEP_2) | instskip(SKIP_1) | instid1(VALU_DEP_1)
	v_dual_add_nc_u32 v7, s8, v0 :: v_dual_ashrrev_i32 v1, 31, v0
	s_wait_kmcnt 0x0
	v_lshl_add_u64 v[2:3], v[0:1], 2, s[2:3]
	s_mov_b32 s3, 0
.LBB3_3:                                ; =>This Inner Loop Header: Depth=1
	global_load_b32 v1, v[2:3], off
	s_wait_xcnt 0x0
	v_add_nc_u64_e32 v[2:3], 4, v[2:3]
	s_wait_loadcnt 0x0
	v_cmp_gt_f32_e32 vcc_lo, v1, v6
	v_dual_cndmask_b32 v5, v5, v0 :: v_dual_add_nc_u32 v0, 1, v0
	v_cndmask_b32_e32 v6, v6, v1, vcc_lo
	s_delay_alu instid0(VALU_DEP_2) | instskip(SKIP_1) | instid1(SALU_CYCLE_1)
	v_cmp_ge_i32_e64 s2, v0, v7
	s_or_b32 s3, s2, s3
	s_and_not1_b32 exec_lo, exec_lo, s3
	s_cbranch_execnz .LBB3_3
; %bb.4:
	s_or_b32 exec_lo, exec_lo, s3
	s_branch .LBB3_6
.LBB3_5:
	v_dual_mov_b32 v5, -1 :: v_dual_mov_b32 v6, 0
.LBB3_6:
	s_abs_i32 s2, s8
	s_wait_xcnt 0x0
	s_load_b64 s[0:1], s[0:1], 0x20
	s_cvt_f32_u32 s3, s2
	s_sub_co_i32 s8, 0, s2
	v_ashrrev_i32_e32 v2, 31, v5
	s_delay_alu instid0(SALU_CYCLE_1) | instskip(SKIP_1) | instid1(TRANS32_DEP_1)
	v_rcp_iflag_f32_e32 v0, s3
	v_nop
	v_readfirstlane_b32 s3, v0
	v_sub_nc_u32_e32 v0, 0, v5
	s_mul_f32 s3, s3, 0x4f7ffffe
	s_delay_alu instid0(VALU_DEP_1) | instskip(NEXT) | instid1(SALU_CYCLE_2)
	v_max_i32_e32 v0, v5, v0
	s_cvt_u32_f32 s3, s3
	s_delay_alu instid0(SALU_CYCLE_3) | instskip(NEXT) | instid1(SALU_CYCLE_1)
	s_mul_i32 s8, s8, s3
	s_mul_hi_u32 s8, s3, s8
	s_delay_alu instid0(SALU_CYCLE_1) | instskip(NEXT) | instid1(SALU_CYCLE_1)
	s_add_co_i32 s3, s3, s8
	v_mul_hi_u32 v1, v0, s3
	s_delay_alu instid0(VALU_DEP_1) | instskip(NEXT) | instid1(VALU_DEP_1)
	v_mul_lo_u32 v1, v1, s2
	v_sub_nc_u32_e32 v0, v0, v1
	s_delay_alu instid0(VALU_DEP_1) | instskip(SKIP_1) | instid1(VALU_DEP_2)
	v_subrev_nc_u32_e32 v1, s2, v0
	v_cmp_le_u32_e32 vcc_lo, s2, v0
	v_cndmask_b32_e32 v0, v0, v1, vcc_lo
	s_delay_alu instid0(VALU_DEP_1) | instskip(SKIP_2) | instid1(VALU_DEP_2)
	v_subrev_nc_u32_e32 v1, s2, v0
	v_cmp_le_u32_e32 vcc_lo, s2, v0
	s_mov_b32 s2, exec_lo
	v_cndmask_b32_e32 v1, v0, v1, vcc_lo
	v_mad_u32 v0, s10, s9, v4
	s_delay_alu instid0(VALU_DEP_2) | instskip(NEXT) | instid1(VALU_DEP_1)
	v_xor_b32_e32 v1, v1, v2
	v_dual_mov_b32 v2, 0 :: v_dual_sub_nc_u32 v3, v1, v2
	s_delay_alu instid0(VALU_DEP_3)
	v_ashrrev_i32_e32 v1, 31, v0
	s_wait_kmcnt 0x0
	s_clause 0x1
	global_store_b32 v0, v3, s[6:7] scale_offset
	global_store_b32 v0, v6, s[12:13] scale_offset
	s_wait_xcnt 0x0
	v_cmpx_lt_i32_e32 -1, v5
	s_cbranch_execz .LBB3_8
; %bb.7:
	global_load_b32 v2, v5, s[4:5] scale_offset
.LBB3_8:
	s_wait_xcnt 0x0
	s_or_b32 exec_lo, exec_lo, s2
	v_lshl_add_u64 v[0:1], v[0:1], 2, s[0:1]
	s_wait_loadcnt 0x0
	global_store_b32 v[0:1], v2, off
.LBB3_9:
	s_endpgm
	.section	.rodata,"a",@progbits
	.p2align	6, 0x0
	.amdhsa_kernel _Z16redux_semblancesPKfS0_PiPfS2_iii
		.amdhsa_group_segment_fixed_size 0
		.amdhsa_private_segment_fixed_size 0
		.amdhsa_kernarg_size 52
		.amdhsa_user_sgpr_count 2
		.amdhsa_user_sgpr_dispatch_ptr 0
		.amdhsa_user_sgpr_queue_ptr 0
		.amdhsa_user_sgpr_kernarg_segment_ptr 1
		.amdhsa_user_sgpr_dispatch_id 0
		.amdhsa_user_sgpr_kernarg_preload_length 0
		.amdhsa_user_sgpr_kernarg_preload_offset 0
		.amdhsa_user_sgpr_private_segment_size 0
		.amdhsa_wavefront_size32 1
		.amdhsa_uses_dynamic_stack 0
		.amdhsa_enable_private_segment 0
		.amdhsa_system_sgpr_workgroup_id_x 1
		.amdhsa_system_sgpr_workgroup_id_y 0
		.amdhsa_system_sgpr_workgroup_id_z 0
		.amdhsa_system_sgpr_workgroup_info 0
		.amdhsa_system_vgpr_workitem_id 0
		.amdhsa_next_free_vgpr 8
		.amdhsa_next_free_sgpr 14
		.amdhsa_named_barrier_count 0
		.amdhsa_reserve_vcc 1
		.amdhsa_float_round_mode_32 0
		.amdhsa_float_round_mode_16_64 0
		.amdhsa_float_denorm_mode_32 3
		.amdhsa_float_denorm_mode_16_64 3
		.amdhsa_fp16_overflow 0
		.amdhsa_memory_ordered 1
		.amdhsa_forward_progress 1
		.amdhsa_inst_pref_size 5
		.amdhsa_round_robin_scheduling 0
		.amdhsa_exception_fp_ieee_invalid_op 0
		.amdhsa_exception_fp_denorm_src 0
		.amdhsa_exception_fp_ieee_div_zero 0
		.amdhsa_exception_fp_ieee_overflow 0
		.amdhsa_exception_fp_ieee_underflow 0
		.amdhsa_exception_fp_ieee_inexact 0
		.amdhsa_exception_int_div_zero 0
	.end_amdhsa_kernel
	.text
.Lfunc_end3:
	.size	_Z16redux_semblancesPKfS0_PiPfS2_iii, .Lfunc_end3-_Z16redux_semblancesPKfS0_PiPfS2_iii
                                        ; -- End function
	.set _Z16redux_semblancesPKfS0_PiPfS2_iii.num_vgpr, 8
	.set _Z16redux_semblancesPKfS0_PiPfS2_iii.num_agpr, 0
	.set _Z16redux_semblancesPKfS0_PiPfS2_iii.numbered_sgpr, 14
	.set _Z16redux_semblancesPKfS0_PiPfS2_iii.num_named_barrier, 0
	.set _Z16redux_semblancesPKfS0_PiPfS2_iii.private_seg_size, 0
	.set _Z16redux_semblancesPKfS0_PiPfS2_iii.uses_vcc, 1
	.set _Z16redux_semblancesPKfS0_PiPfS2_iii.uses_flat_scratch, 0
	.set _Z16redux_semblancesPKfS0_PiPfS2_iii.has_dyn_sized_stack, 0
	.set _Z16redux_semblancesPKfS0_PiPfS2_iii.has_recursion, 0
	.set _Z16redux_semblancesPKfS0_PiPfS2_iii.has_indirect_call, 0
	.section	.AMDGPU.csdata,"",@progbits
; Kernel info:
; codeLenInByte = 516
; TotalNumSgprs: 16
; NumVgprs: 8
; ScratchSize: 0
; MemoryBound: 0
; FloatMode: 240
; IeeeMode: 1
; LDSByteSize: 0 bytes/workgroup (compile time only)
; SGPRBlocks: 0
; VGPRBlocks: 0
; NumSGPRsForWavesPerEU: 16
; NumVGPRsForWavesPerEU: 8
; NamedBarCnt: 0
; Occupancy: 16
; WaveLimiterHint : 0
; COMPUTE_PGM_RSRC2:SCRATCH_EN: 0
; COMPUTE_PGM_RSRC2:USER_SGPR: 2
; COMPUTE_PGM_RSRC2:TRAP_HANDLER: 0
; COMPUTE_PGM_RSRC2:TGID_X_EN: 1
; COMPUTE_PGM_RSRC2:TGID_Y_EN: 0
; COMPUTE_PGM_RSRC2:TGID_Z_EN: 0
; COMPUTE_PGM_RSRC2:TIDIG_COMP_CNT: 0
	.text
	.p2alignl 7, 3214868480
	.fill 96, 4, 3214868480
	.section	.AMDGPU.gpr_maximums,"",@progbits
	.set amdgpu.max_num_vgpr, 0
	.set amdgpu.max_num_agpr, 0
	.set amdgpu.max_num_sgpr, 0
	.text
	.type	__hip_cuid_8421e6689b222bd5,@object ; @__hip_cuid_8421e6689b222bd5
	.section	.bss,"aw",@nobits
	.globl	__hip_cuid_8421e6689b222bd5
__hip_cuid_8421e6689b222bd5:
	.byte	0                               ; 0x0
	.size	__hip_cuid_8421e6689b222bd5, 1

	.ident	"AMD clang version 22.0.0git (https://github.com/RadeonOpenCompute/llvm-project roc-7.2.4 26084 f58b06dce1f9c15707c5f808fd002e18c2accf7e)"
	.section	".note.GNU-stack","",@progbits
	.addrsig
	.addrsig_sym __hip_cuid_8421e6689b222bd5
	.amdgpu_metadata
---
amdhsa.kernels:
  - .args:
      - .address_space:  global
        .offset:         0
        .size:           8
        .value_kind:     global_buffer
      - .offset:         8
        .size:           4
        .value_kind:     by_value
      - .offset:         12
        .size:           4
        .value_kind:     by_value
    .group_segment_fixed_size: 0
    .kernarg_segment_align: 8
    .kernarg_segment_size: 16
    .language:       OpenCL C
    .language_version:
      - 2
      - 0
    .max_flat_workgroup_size: 1024
    .name:           _Z6init_cPfff
    .private_segment_fixed_size: 0
    .sgpr_count:     7
    .sgpr_spill_count: 0
    .symbol:         _Z6init_cPfff.kd
    .uniform_work_group_size: 1
    .uses_dynamic_stack: false
    .vgpr_count:     2
    .vgpr_spill_count: 0
    .wavefront_size: 32
  - .args:
      - .actual_access:  read_only
        .address_space:  global
        .offset:         0
        .size:           8
        .value_kind:     global_buffer
      - .actual_access:  read_only
        .address_space:  global
        .offset:         8
        .size:           8
        .value_kind:     global_buffer
      - .actual_access:  read_only
        .address_space:  global
        .offset:         16
        .size:           8
        .value_kind:     global_buffer
      - .actual_access:  read_only
        .address_space:  global
        .offset:         24
        .size:           8
        .value_kind:     global_buffer
      - .actual_access:  read_only
        .address_space:  global
        .offset:         32
        .size:           8
        .value_kind:     global_buffer
      - .actual_access:  write_only
        .address_space:  global
        .offset:         40
        .size:           8
        .value_kind:     global_buffer
    .group_segment_fixed_size: 0
    .kernarg_segment_align: 8
    .kernarg_segment_size: 48
    .language:       OpenCL C
    .language_version:
      - 2
      - 0
    .max_flat_workgroup_size: 1024
    .name:           _Z9init_halfPKfS0_S0_S0_S0_Pf
    .private_segment_fixed_size: 0
    .sgpr_count:     16
    .sgpr_spill_count: 0
    .symbol:         _Z9init_halfPKfS0_S0_S0_S0_Pf.kd
    .uniform_work_group_size: 1
    .uses_dynamic_stack: false
    .vgpr_count:     6
    .vgpr_spill_count: 0
    .wavefront_size: 32
  - .args:
      - .actual_access:  read_only
        .address_space:  global
        .offset:         0
        .size:           8
        .value_kind:     global_buffer
      - .actual_access:  read_only
        .address_space:  global
        .offset:         8
        .size:           8
        .value_kind:     global_buffer
      - .actual_access:  read_only
        .address_space:  global
        .offset:         16
        .size:           8
        .value_kind:     global_buffer
      - .actual_access:  write_only
        .address_space:  global
        .offset:         24
        .size:           8
        .value_kind:     global_buffer
      - .actual_access:  write_only
        .address_space:  global
        .offset:         32
        .size:           8
        .value_kind:     global_buffer
      - .offset:         40
        .size:           4
        .value_kind:     by_value
      - .offset:         44
        .size:           4
        .value_kind:     by_value
      - .offset:         48
        .size:           4
        .value_kind:     by_value
      - .offset:         52
        .size:           4
        .value_kind:     by_value
      - .offset:         56
        .size:           4
        .value_kind:     by_value
      - .offset:         60
        .size:           4
        .value_kind:     by_value
      - .offset:         64
        .size:           4
        .value_kind:     by_value
      - .offset:         68
        .size:           4
        .value_kind:     by_value
    .group_segment_fixed_size: 0
    .kernarg_segment_align: 8
    .kernarg_segment_size: 72
    .language:       OpenCL C
    .language_version:
      - 2
      - 0
    .max_flat_workgroup_size: 1024
    .name:           _Z18compute_semblancesPKfS0_S0_PfS1_iiffiiii
    .private_segment_fixed_size: 0
    .sgpr_count:     34
    .sgpr_spill_count: 0
    .symbol:         _Z18compute_semblancesPKfS0_S0_PfS1_iiffiiii.kd
    .uniform_work_group_size: 1
    .uses_dynamic_stack: false
    .vgpr_count:     30
    .vgpr_spill_count: 0
    .wavefront_size: 32
  - .args:
      - .actual_access:  read_only
        .address_space:  global
        .offset:         0
        .size:           8
        .value_kind:     global_buffer
      - .actual_access:  read_only
        .address_space:  global
        .offset:         8
        .size:           8
        .value_kind:     global_buffer
      - .actual_access:  write_only
        .address_space:  global
        .offset:         16
        .size:           8
        .value_kind:     global_buffer
      - .actual_access:  write_only
        .address_space:  global
        .offset:         24
        .size:           8
        .value_kind:     global_buffer
      - .actual_access:  write_only
        .address_space:  global
        .offset:         32
        .size:           8
        .value_kind:     global_buffer
      - .offset:         40
        .size:           4
        .value_kind:     by_value
      - .offset:         44
        .size:           4
        .value_kind:     by_value
      - .offset:         48
        .size:           4
        .value_kind:     by_value
    .group_segment_fixed_size: 0
    .kernarg_segment_align: 8
    .kernarg_segment_size: 52
    .language:       OpenCL C
    .language_version:
      - 2
      - 0
    .max_flat_workgroup_size: 1024
    .name:           _Z16redux_semblancesPKfS0_PiPfS2_iii
    .private_segment_fixed_size: 0
    .sgpr_count:     16
    .sgpr_spill_count: 0
    .symbol:         _Z16redux_semblancesPKfS0_PiPfS2_iii.kd
    .uniform_work_group_size: 1
    .uses_dynamic_stack: false
    .vgpr_count:     8
    .vgpr_spill_count: 0
    .wavefront_size: 32
amdhsa.target:   amdgcn-amd-amdhsa--gfx1250
amdhsa.version:
  - 1
  - 2
...

	.end_amdgpu_metadata
